;; amdgpu-corpus repo=zjin-lcf/HeCBench kind=compiled arch=gfx906 opt=O3
	.amdgcn_target "amdgcn-amd-amdhsa--gfx906"
	.amdhsa_code_object_version 6
	.text
	.protected	_Z3attPKiS0_PfS1_S1_S1_S1_iii ; -- Begin function _Z3attPKiS0_PfS1_S1_S1_S1_iii
	.globl	_Z3attPKiS0_PfS1_S1_S1_S1_iii
	.p2align	8
	.type	_Z3attPKiS0_PfS1_S1_S1_S1_iii,@function
_Z3attPKiS0_PfS1_S1_S1_S1_iii:          ; @_Z3attPKiS0_PfS1_S1_S1_S1_iii
; %bb.0:
	s_load_dword s0, s[4:5], 0x54
	s_load_dwordx4 s[8:11], s[4:5], 0x38
	s_waitcnt lgkmcnt(0)
	s_and_b32 s0, s0, 0xffff
	s_mul_i32 s6, s6, s0
	v_add_u32_e32 v0, s6, v0
	v_cmp_gt_i32_e32 vcc, s10, v0
	s_and_saveexec_b64 s[0:1], vcc
	s_cbranch_execz .LBB0_18
; %bb.1:
	s_load_dwordx4 s[0:3], s[4:5], 0x0
	s_load_dwordx2 s[14:15], s[4:5], 0x18
	v_ashrrev_i32_e32 v1, 31, v0
	v_lshlrev_b64 v[0:1], 2, v[0:1]
	s_load_dwordx2 s[12:13], s[4:5], 0x30
	s_waitcnt lgkmcnt(0)
	v_mov_b32_e32 v3, s1
	v_add_co_u32_e32 v2, vcc, s0, v0
	v_addc_co_u32_e32 v3, vcc, v3, v1, vcc
	global_load_dword v10, v[2:3], off
	v_mov_b32_e32 v2, s3
	v_add_co_u32_e32 v0, vcc, s2, v0
	v_addc_co_u32_e32 v1, vcc, v2, v1, vcc
	global_load_dword v4, v[0:1], off
	s_mul_i32 s0, s9, s8
	s_ashr_i32 s11, s9, 31
	s_mov_b32 s10, s9
	s_lshl_b64 s[6:7], s[10:11], 2
	s_waitcnt vmcnt(1)
	v_mul_lo_u32 v0, s0, v10
	v_ashrrev_i32_e32 v1, 31, v0
	v_lshlrev_b64 v[2:3], 2, v[0:1]
	s_waitcnt vmcnt(0)
	v_mul_lo_u32 v5, v4, s9
	v_cmp_ne_u32_e32 vcc, 0, v4
	v_ashrrev_i32_e32 v6, 31, v5
	v_lshlrev_b64 v[0:1], 2, v[5:6]
	s_and_saveexec_b64 s[0:1], vcc
	s_xor_b64 s[16:17], exec, s[0:1]
	s_cbranch_execz .LBB0_11
; %bb.2:
	s_add_i32 s0, s8, -1
	v_cmp_ne_u32_e32 vcc, s0, v4
	v_add_u32_e32 v4, -1, v4
	v_mul_lo_u32 v8, v4, s9
	v_mov_b32_e32 v5, s15
	v_add_co_u32_e64 v11, s[0:1], s14, v2
	v_ashrrev_i32_e32 v9, 31, v8
	v_addc_co_u32_e64 v12, s[0:1], v5, v3, s[0:1]
	v_lshlrev_b64 v[4:5], 2, v[8:9]
	v_add_co_u32_e64 v4, s[0:1], v11, v4
	v_addc_co_u32_e64 v5, s[0:1], v12, v5, s[0:1]
	v_add_co_u32_e64 v6, s[0:1], v11, v0
	v_addc_co_u32_e64 v7, s[0:1], v12, v1, s[0:1]
	s_and_saveexec_b64 s[0:1], vcc
	s_xor_b64 s[18:19], exec, s[0:1]
	s_cbranch_execz .LBB0_6
; %bb.3:
	s_cmp_lt_i32 s9, 1
	s_cbranch_scc1 .LBB0_6
; %bb.4:
	v_lshl_add_u32 v8, s9, 1, v8
	v_ashrrev_i32_e32 v9, 31, v8
	v_lshlrev_b64 v[8:9], 2, v[8:9]
	s_lshl_b64 s[20:21], s[10:11], 3
	v_add_co_u32_e32 v8, vcc, v11, v8
	v_addc_co_u32_e32 v9, vcc, v12, v9, vcc
	s_mov_b32 s8, 0x3e4ccccd
	s_mov_b32 s24, 0x3ca3d70b
	v_mov_b32_e32 v11, 0
	s_mov_b64 s[22:23], s[12:13]
	s_mov_b32 s25, s9
.LBB0_5:                                ; =>This Inner Loop Header: Depth=1
	global_load_dword v13, v[4:5], off
	global_load_dword v14, v[8:9], off
	;; [unrolled: 1-line block ×3, first 2 shown]
	v_add_co_u32_e32 v4, vcc, 4, v4
	v_addc_co_u32_e32 v5, vcc, 0, v5, vcc
	s_add_u32 s26, s22, s6
	v_add_co_u32_e64 v6, s[0:1], 4, v6
	s_addc_u32 s27, s23, s7
	s_waitcnt vmcnt(1)
	v_sub_f32_e32 v15, v13, v14
	s_waitcnt vmcnt(0)
	v_fmac_f32_e32 v13, -2.0, v12
	v_div_scale_f32 v16, s[2:3], s8, s8, v15
	v_add_f32_e32 v13, v14, v13
	v_div_scale_f32 v17, s[2:3], s24, s24, v13
	v_div_scale_f32 v14, vcc, v15, s8, v15
	v_div_scale_f32 v18, s[2:3], v13, s24, v13
	v_rcp_f32_e32 v19, v16
	v_rcp_f32_e32 v20, v17
	v_fma_f32 v21, -v16, v19, 1.0
	v_fmac_f32_e32 v19, v21, v19
	v_mul_f32_e32 v22, v14, v19
	v_fma_f32 v21, -v17, v20, 1.0
	v_fmac_f32_e32 v20, v21, v20
	v_fma_f32 v21, -v16, v22, v14
	v_mul_f32_e32 v23, v18, v20
	v_fmac_f32_e32 v22, v21, v19
	v_fma_f32 v21, -v17, v23, v18
	v_fma_f32 v14, -v16, v22, v14
	v_fmac_f32_e32 v23, v21, v20
	v_div_fmas_f32 v14, v14, v19, v22
	v_fma_f32 v16, -v17, v23, v18
	s_mov_b64 vcc, s[2:3]
	v_div_fmas_f32 v16, v16, v20, v23
	v_addc_co_u32_e64 v7, vcc, 0, v7, s[0:1]
	s_add_u32 s0, s22, s20
	s_addc_u32 s1, s23, s21
	s_add_i32 s25, s25, -1
	v_add_co_u32_e32 v8, vcc, 4, v8
	v_addc_co_u32_e32 v9, vcc, 0, v9, vcc
	v_div_fixup_f32 v14, v14, s8, v15
	v_fmac_f32_e32 v12, 0x3e99999a, v14
	v_div_fixup_f32 v13, v16, s24, v13
	v_mul_f32_e32 v15, 0x3e99999a, v13
	v_add_f32_e32 v16, v13, v13
	v_fmac_f32_e32 v12, 0x3e99999a, v15
	v_fmac_f32_e32 v14, 0x3e99999a, v16
	global_store_dword v11, v12, s[22:23]
	global_store_dword v11, v14, s[26:27]
	s_add_u32 s22, s22, 4
	s_addc_u32 s23, s23, 0
	s_cmp_lg_u32 s25, 0
	global_store_dword v11, v13, s[0:1]
	s_cbranch_scc1 .LBB0_5
.LBB0_6:
	s_andn2_saveexec_b64 s[0:1], s[18:19]
	s_cbranch_execz .LBB0_10
; %bb.7:
	s_cmp_lt_i32 s9, 1
	s_cbranch_scc1 .LBB0_10
; %bb.8:
	s_lshl_b64 s[2:3], s[10:11], 3
	s_mov_b32 s8, 0x3dcccccd
	v_mov_b32_e32 v8, 0
	s_mov_b64 s[18:19], s[12:13]
	s_mov_b32 s20, s9
.LBB0_9:                                ; =>This Inner Loop Header: Depth=1
	global_load_dword v9, v[4:5], off
	global_load_dword v11, v[6:7], off
	s_waitcnt vmcnt(0)
	v_sub_f32_e32 v9, v11, v9
	v_div_scale_f32 v12, s[22:23], s8, s8, v9
	v_div_scale_f32 v13, vcc, v9, s8, v9
	s_add_u32 s22, s18, s6
	s_addc_u32 s23, s19, s7
	s_add_u32 s24, s18, s2
	s_addc_u32 s25, s19, s3
	s_add_i32 s20, s20, -1
	v_rcp_f32_e32 v14, v12
	v_fma_f32 v15, -v12, v14, 1.0
	v_fmac_f32_e32 v14, v15, v14
	v_mul_f32_e32 v15, v13, v14
	v_fma_f32 v16, -v12, v15, v13
	v_fmac_f32_e32 v15, v16, v14
	v_fma_f32 v12, -v12, v15, v13
	v_div_fmas_f32 v12, v12, v14, v15
	v_add_co_u32_e32 v4, vcc, 4, v4
	v_addc_co_u32_e32 v5, vcc, 0, v5, vcc
	v_add_co_u32_e32 v6, vcc, 4, v6
	v_addc_co_u32_e32 v7, vcc, 0, v7, vcc
	v_div_fixup_f32 v9, v12, s8, v9
	v_fmac_f32_e32 v11, 0x3e99999a, v9
	global_store_dword v8, v9, s[22:23]
	global_store_dword v8, v11, s[18:19]
	s_add_u32 s18, s18, 4
	s_addc_u32 s19, s19, 0
	s_cmp_eq_u32 s20, 0
	global_store_dword v8, v8, s[24:25]
	s_cbranch_scc0 .LBB0_9
.LBB0_10:
	s_or_b64 exec, exec, s[0:1]
.LBB0_11:
	s_andn2_saveexec_b64 s[0:1], s[16:17]
	s_cbranch_execz .LBB0_15
; %bb.12:
	s_cmp_lt_i32 s9, 1
	s_cbranch_scc1 .LBB0_15
; %bb.13:
	v_mov_b32_e32 v5, s15
	v_add_co_u32_e32 v4, vcc, s14, v2
	v_addc_co_u32_e32 v5, vcc, v5, v3, vcc
	s_lshl_b64 s[2:3], s[10:11], 3
	v_mov_b32_e32 v6, s7
	s_mov_b32 s8, 0x3dcccccd
	v_mov_b32_e32 v7, 0
	s_mov_b64 s[14:15], s[12:13]
	s_mov_b32 s11, s9
.LBB0_14:                               ; =>This Inner Loop Header: Depth=1
	v_add_co_u32_e32 v8, vcc, v4, v0
	v_addc_co_u32_e32 v9, vcc, v5, v1, vcc
	v_add_co_u32_e32 v11, vcc, s6, v4
	v_addc_co_u32_e32 v12, vcc, v5, v6, vcc
	global_load_dword v13, v[8:9], off
	global_load_dword v14, v[11:12], off
	s_waitcnt vmcnt(0)
	v_sub_f32_e32 v8, v14, v13
	v_div_scale_f32 v9, s[16:17], s8, s8, v8
	v_div_scale_f32 v11, vcc, v8, s8, v8
	s_add_u32 s16, s14, s6
	s_addc_u32 s17, s15, s7
	s_add_u32 s18, s14, s2
	s_addc_u32 s19, s15, s3
	s_add_i32 s11, s11, -1
	v_rcp_f32_e32 v12, v9
	v_fma_f32 v14, -v9, v12, 1.0
	v_fmac_f32_e32 v12, v14, v12
	v_mul_f32_e32 v14, v11, v12
	v_fma_f32 v15, -v9, v14, v11
	v_fmac_f32_e32 v14, v15, v12
	v_fma_f32 v9, -v9, v14, v11
	v_div_fmas_f32 v9, v9, v12, v14
	v_add_co_u32_e32 v4, vcc, 4, v4
	v_addc_co_u32_e32 v5, vcc, 0, v5, vcc
	v_div_fixup_f32 v8, v9, s8, v8
	v_fmac_f32_e32 v13, 0x3e99999a, v8
	global_store_dword v7, v8, s[16:17]
	global_store_dword v7, v13, s[14:15]
	s_add_u32 s14, s14, 4
	s_addc_u32 s15, s15, 0
	s_cmp_eq_u32 s11, 0
	global_store_dword v7, v7, s[18:19]
	s_cbranch_scc0 .LBB0_14
.LBB0_15:
	s_or_b64 exec, exec, s[0:1]
	s_cmp_lt_i32 s9, 1
	s_cbranch_scc1 .LBB0_18
; %bb.16:
	s_load_dwordx2 s[14:15], s[4:5], 0x10
	s_load_dwordx4 s[0:3], s[4:5], 0x20
	v_mul_lo_u32 v4, v10, s9
	s_add_u32 s4, s12, s6
	s_addc_u32 s5, s13, s7
	s_waitcnt lgkmcnt(0)
	v_mov_b32_e32 v5, s15
	v_add_co_u32_e32 v2, vcc, s14, v2
	v_addc_co_u32_e32 v3, vcc, v5, v3, vcc
	v_add_co_u32_e32 v0, vcc, v2, v0
	v_ashrrev_i32_e32 v5, 31, v4
	v_addc_co_u32_e32 v1, vcc, v3, v1, vcc
	s_add_u32 s4, s4, s6
	v_lshlrev_b64 v[2:3], 2, v[4:5]
	s_addc_u32 s5, s5, s7
	s_add_u32 s4, s4, s6
	v_mov_b32_e32 v4, s1
	v_add_co_u32_e32 v2, vcc, s0, v2
	s_addc_u32 s5, s5, s7
	v_addc_co_u32_e32 v3, vcc, v4, v3, vcc
	s_mul_hi_i32 s8, s10, 0xffffffe4
	s_mul_i32 s24, s10, 0xffffffe4
	s_mul_hi_i32 s25, s10, 24
	s_mul_i32 s26, s10, 24
	v_mov_b32_e32 v4, 0
	s_mov_b32 s27, 0x3f333333
	s_mov_b32 s28, 0xbfb8aa3b
	;; [unrolled: 1-line block ×4, first 2 shown]
	v_mov_b32_e32 v5, 0x7f800000
	v_mov_b32_e32 v6, 0x40c00000
.LBB0_17:                               ; =>This Inner Loop Header: Depth=1
	global_load_dword v8, v[2:3], off
	s_add_u32 s16, s4, s6
	s_addc_u32 s17, s5, s7
	s_add_u32 s12, s16, s6
	s_addc_u32 s13, s17, s7
	;; [unrolled: 2-line block ×5, first 2 shown]
	s_add_u32 s20, s0, s6
	global_load_dword v7, v4, s[2:3]
	s_addc_u32 s21, s1, s7
	s_add_u32 s18, s20, s6
	s_addc_u32 s19, s21, s7
	v_mov_b32_e32 v10, 0xc0400000
	s_add_u32 s34, s18, s26
	s_addc_u32 s35, s19, s25
	s_waitcnt vmcnt(1)
	global_store_dword v4, v8, s[4:5]
	global_load_dword v17, v4, s[0:1]
	global_load_dword v11, v4, s[18:19]
	;; [unrolled: 1-line block ×3, first 2 shown]
	v_mul_f32_e32 v14, 0x3f333333, v8
	v_mul_f32_e32 v13, 0xbfb8aa3b, v14
	v_fma_f32 v16, v14, s28, -v13
	v_rndne_f32_e32 v19, v13
	v_fmac_f32_e32 v16, 0xb2a5705f, v14
	v_sub_f32_e32 v13, v13, v19
	v_add_f32_e32 v13, v13, v16
	v_cvt_i32_f32_e32 v19, v19
	v_exp_f32_e32 v13, v13
	v_cmp_nlt_f32_e32 vcc, s29, v14
	v_mul_f32_e32 v9, v8, v8
	v_mul_f32_e32 v18, v8, v9
	v_ldexp_f32 v13, v13, v19
	v_cndmask_b32_e32 v13, 0, v13, vcc
	v_cmp_ngt_f32_e32 vcc, s30, v14
	v_cndmask_b32_e32 v13, v5, v13, vcc
	v_sub_f32_e32 v16, 1.0, v13
	v_add_f32_e32 v13, v16, v16
	v_div_scale_f32 v20, s[0:1], v18, v18, v13
	v_div_scale_f32 v21, vcc, v13, v18, v13
	v_fmac_f32_e32 v10, 0x3f333333, v8
	v_fma_f32 v10, v14, v10, v6
	v_mul_f32_e32 v19, 0x40c00000, v16
	v_fma_f32 v19, v14, v10, -v19
	v_mul_f32_e32 v12, 0x40400000, v9
	v_mul_f32_e32 v12, v9, v12
	global_store_dword v4, v14, s[16:17]
	global_store_dword v4, v9, s[12:13]
	;; [unrolled: 1-line block ×3, first 2 shown]
	v_rcp_f32_e32 v10, v20
	v_fma_f32 v22, -v20, v10, 1.0
	v_fmac_f32_e32 v10, v22, v10
	v_mul_f32_e32 v22, v21, v10
	v_fma_f32 v23, -v20, v22, v21
	v_fmac_f32_e32 v22, v23, v10
	v_fma_f32 v20, -v20, v22, v21
	v_div_fmas_f32 v10, v20, v10, v22
	v_div_fixup_f32 v10, v10, v18, v13
	s_waitcnt vmcnt(5)
	v_fma_f32 v13, v8, v7, -v17
	v_mul_f32_e32 v18, v16, v13
	s_waitcnt vmcnt(4)
	v_mul_f32_e32 v11, 0x3e99999a, v11
	v_fmac_f32_e32 v18, v17, v14
	v_mul_f32_e32 v13, v19, v11
	v_div_scale_f32 v19, s[0:1], v9, v9, v18
	v_div_scale_f32 v20, vcc, v18, v9, v18
	v_mul_f32_e32 v17, v17, v16
	s_waitcnt vmcnt(3)
	v_mul_f32_e32 v15, 0x3f666666, v15
	v_rcp_f32_e32 v21, v19
	v_fma_f32 v22, -v19, v21, 1.0
	v_fmac_f32_e32 v21, v22, v21
	v_mul_f32_e32 v22, v20, v21
	v_fma_f32 v23, -v19, v22, v20
	v_fmac_f32_e32 v22, v23, v21
	v_div_scale_f32 v23, s[0:1], v12, v12, v13
	v_fma_f32 v19, -v19, v22, v20
	v_div_scale_f32 v20, s[0:1], v13, v12, v13
	v_div_fmas_f32 v19, v19, v21, v22
	s_mov_b64 vcc, s[0:1]
	v_rcp_f32_e32 v21, v23
	v_fma_f32 v22, -v23, v21, 1.0
	v_fmac_f32_e32 v21, v22, v21
	v_mul_f32_e32 v22, v20, v21
	v_fma_f32 v24, -v23, v22, v20
	v_fmac_f32_e32 v22, v24, v21
	v_fma_f32 v20, -v23, v22, v20
	v_div_scale_f32 v23, s[20:21], v8, v8, v17
	v_div_fmas_f32 v20, v20, v21, v22
	s_add_u32 s20, s34, s6
	s_addc_u32 s21, s35, s7
	s_add_u32 s22, s20, s6
	s_addc_u32 s23, s21, s7
	;; [unrolled: 2-line block ×3, first 2 shown]
	v_div_fixup_f32 v18, v19, v9, v18
	s_add_u32 s18, s16, s6
	s_addc_u32 s19, s17, s7
	v_rcp_f32_e32 v21, v23
	v_div_fixup_f32 v12, v20, v12, v13
	v_fma_f32 v22, -v23, v21, 1.0
	v_fmac_f32_e32 v21, v22, v21
	v_div_scale_f32 v22, vcc, v17, v8, v17
	v_mul_f32_e32 v24, v22, v21
	v_fma_f32 v25, -v23, v24, v22
	v_fmac_f32_e32 v24, v25, v21
	v_fma_f32 v22, -v23, v24, v22
	v_div_fmas_f32 v21, v22, v21, v24
	v_fma_f32 v22, v8, s27, -v16
	v_mul_f32_e32 v22, v15, v22
	v_div_scale_f32 v23, s[0:1], v9, v9, v22
	s_add_u32 s0, s18, s6
	v_sub_f32_e32 v16, 1.0, v16
	s_addc_u32 s1, s19, s7
	s_add_i32 s9, s9, -1
	v_mul_f32_e32 v19, v7, v16
	s_add_u32 s4, s4, 4
	s_addc_u32 s5, s5, 0
	v_rcp_f32_e32 v24, v23
	v_fma_f32 v25, -v23, v24, 1.0
	v_fmac_f32_e32 v24, v25, v24
	v_div_scale_f32 v25, vcc, v22, v9, v22
	v_mul_f32_e32 v26, v25, v24
	v_fma_f32 v27, -v23, v26, v25
	v_fmac_f32_e32 v26, v27, v24
	v_fma_f32 v23, -v23, v26, v25
	v_div_fmas_f32 v23, v23, v24, v26
	v_fma_f32 v24, v8, s27, -2.0
	v_fmac_f32_e32 v10, v14, v24
	global_load_dword v14, v[0:1], off
	v_fmac_f32_e32 v18, v10, v15
	v_add_f32_e32 v12, v18, v12
	v_div_fixup_f32 v8, v21, v8, v17
	v_mul_f32_e32 v13, 0.5, v12
	global_store_dword v4, v10, s[10:11]
	v_mul_f32_e32 v15, v11, v10
	global_store_dword v4, v12, s[34:35]
	v_add_co_u32_e32 v2, vcc, 4, v2
	v_addc_co_u32_e32 v3, vcc, 0, v3, vcc
	v_div_fixup_f32 v9, v23, v9, v22
	s_waitcnt vmcnt(2)
	v_fmac_f32_e32 v14, 0.5, v12
	global_store_dword v4, v13, s[20:21]
	global_store_dword v[0:1], v14, off
	global_store_dword v4, v8, s[22:23]
	global_store_dword v4, v9, s[16:17]
	;; [unrolled: 1-line block ×4, first 2 shown]
	v_add_f32_e32 v8, v8, v9
	v_fmac_f32_e32 v8, v11, v10
	v_fmac_f32_e32 v8, v7, v16
	global_store_dword v4, v8, s[2:3]
	s_add_u32 s2, s2, 4
	v_add_co_u32_e32 v0, vcc, 4, v0
	s_addc_u32 s3, s3, 0
	s_cmp_lg_u32 s9, 0
	v_addc_co_u32_e32 v1, vcc, 0, v1, vcc
	s_cbranch_scc1 .LBB0_17
.LBB0_18:
	s_endpgm
	.section	.rodata,"a",@progbits
	.p2align	6, 0x0
	.amdhsa_kernel _Z3attPKiS0_PfS1_S1_S1_S1_iii
		.amdhsa_group_segment_fixed_size 0
		.amdhsa_private_segment_fixed_size 0
		.amdhsa_kernarg_size 328
		.amdhsa_user_sgpr_count 6
		.amdhsa_user_sgpr_private_segment_buffer 1
		.amdhsa_user_sgpr_dispatch_ptr 0
		.amdhsa_user_sgpr_queue_ptr 0
		.amdhsa_user_sgpr_kernarg_segment_ptr 1
		.amdhsa_user_sgpr_dispatch_id 0
		.amdhsa_user_sgpr_flat_scratch_init 0
		.amdhsa_user_sgpr_private_segment_size 0
		.amdhsa_uses_dynamic_stack 0
		.amdhsa_system_sgpr_private_segment_wavefront_offset 0
		.amdhsa_system_sgpr_workgroup_id_x 1
		.amdhsa_system_sgpr_workgroup_id_y 0
		.amdhsa_system_sgpr_workgroup_id_z 0
		.amdhsa_system_sgpr_workgroup_info 0
		.amdhsa_system_vgpr_workitem_id 0
		.amdhsa_next_free_vgpr 28
		.amdhsa_next_free_sgpr 36
		.amdhsa_reserve_vcc 1
		.amdhsa_reserve_flat_scratch 0
		.amdhsa_float_round_mode_32 0
		.amdhsa_float_round_mode_16_64 0
		.amdhsa_float_denorm_mode_32 3
		.amdhsa_float_denorm_mode_16_64 3
		.amdhsa_dx10_clamp 1
		.amdhsa_ieee_mode 1
		.amdhsa_fp16_overflow 0
		.amdhsa_exception_fp_ieee_invalid_op 0
		.amdhsa_exception_fp_denorm_src 0
		.amdhsa_exception_fp_ieee_div_zero 0
		.amdhsa_exception_fp_ieee_overflow 0
		.amdhsa_exception_fp_ieee_underflow 0
		.amdhsa_exception_fp_ieee_inexact 0
		.amdhsa_exception_int_div_zero 0
	.end_amdhsa_kernel
	.text
.Lfunc_end0:
	.size	_Z3attPKiS0_PfS1_S1_S1_S1_iii, .Lfunc_end0-_Z3attPKiS0_PfS1_S1_S1_S1_iii
                                        ; -- End function
	.set _Z3attPKiS0_PfS1_S1_S1_S1_iii.num_vgpr, 28
	.set _Z3attPKiS0_PfS1_S1_S1_S1_iii.num_agpr, 0
	.set _Z3attPKiS0_PfS1_S1_S1_S1_iii.numbered_sgpr, 36
	.set _Z3attPKiS0_PfS1_S1_S1_S1_iii.num_named_barrier, 0
	.set _Z3attPKiS0_PfS1_S1_S1_S1_iii.private_seg_size, 0
	.set _Z3attPKiS0_PfS1_S1_S1_S1_iii.uses_vcc, 1
	.set _Z3attPKiS0_PfS1_S1_S1_S1_iii.uses_flat_scratch, 0
	.set _Z3attPKiS0_PfS1_S1_S1_S1_iii.has_dyn_sized_stack, 0
	.set _Z3attPKiS0_PfS1_S1_S1_S1_iii.has_recursion, 0
	.set _Z3attPKiS0_PfS1_S1_S1_S1_iii.has_indirect_call, 0
	.section	.AMDGPU.csdata,"",@progbits
; Kernel info:
; codeLenInByte = 2280
; TotalNumSgprs: 40
; NumVgprs: 28
; ScratchSize: 0
; MemoryBound: 0
; FloatMode: 240
; IeeeMode: 1
; LDSByteSize: 0 bytes/workgroup (compile time only)
; SGPRBlocks: 4
; VGPRBlocks: 6
; NumSGPRsForWavesPerEU: 40
; NumVGPRsForWavesPerEU: 28
; Occupancy: 9
; WaveLimiterHint : 1
; COMPUTE_PGM_RSRC2:SCRATCH_EN: 0
; COMPUTE_PGM_RSRC2:USER_SGPR: 6
; COMPUTE_PGM_RSRC2:TRAP_HANDLER: 0
; COMPUTE_PGM_RSRC2:TGID_X_EN: 1
; COMPUTE_PGM_RSRC2:TGID_Y_EN: 0
; COMPUTE_PGM_RSRC2:TGID_Z_EN: 0
; COMPUTE_PGM_RSRC2:TIDIG_COMP_CNT: 0
	.section	.AMDGPU.gpr_maximums,"",@progbits
	.set amdgpu.max_num_vgpr, 0
	.set amdgpu.max_num_agpr, 0
	.set amdgpu.max_num_sgpr, 0
	.section	.AMDGPU.csdata,"",@progbits
	.type	__hip_cuid_95a4f79b55b5efb9,@object ; @__hip_cuid_95a4f79b55b5efb9
	.section	.bss,"aw",@nobits
	.globl	__hip_cuid_95a4f79b55b5efb9
__hip_cuid_95a4f79b55b5efb9:
	.byte	0                               ; 0x0
	.size	__hip_cuid_95a4f79b55b5efb9, 1

	.ident	"AMD clang version 22.0.0git (https://github.com/RadeonOpenCompute/llvm-project roc-7.2.4 26084 f58b06dce1f9c15707c5f808fd002e18c2accf7e)"
	.section	".note.GNU-stack","",@progbits
	.addrsig
	.addrsig_sym __hip_cuid_95a4f79b55b5efb9
	.amdgpu_metadata
---
amdhsa.kernels:
  - .args:
      - .actual_access:  read_only
        .address_space:  global
        .offset:         0
        .size:           8
        .value_kind:     global_buffer
      - .actual_access:  read_only
        .address_space:  global
        .offset:         8
        .size:           8
        .value_kind:     global_buffer
      - .address_space:  global
        .offset:         16
        .size:           8
        .value_kind:     global_buffer
      - .actual_access:  read_only
        .address_space:  global
        .offset:         24
        .size:           8
        .value_kind:     global_buffer
      - .actual_access:  read_only
        .address_space:  global
        .offset:         32
        .size:           8
        .value_kind:     global_buffer
      - .address_space:  global
        .offset:         40
        .size:           8
        .value_kind:     global_buffer
      - .address_space:  global
        .offset:         48
        .size:           8
        .value_kind:     global_buffer
      - .offset:         56
        .size:           4
        .value_kind:     by_value
      - .offset:         60
        .size:           4
        .value_kind:     by_value
      - .offset:         64
        .size:           4
        .value_kind:     by_value
      - .offset:         72
        .size:           4
        .value_kind:     hidden_block_count_x
      - .offset:         76
        .size:           4
        .value_kind:     hidden_block_count_y
      - .offset:         80
        .size:           4
        .value_kind:     hidden_block_count_z
      - .offset:         84
        .size:           2
        .value_kind:     hidden_group_size_x
      - .offset:         86
        .size:           2
        .value_kind:     hidden_group_size_y
      - .offset:         88
        .size:           2
        .value_kind:     hidden_group_size_z
      - .offset:         90
        .size:           2
        .value_kind:     hidden_remainder_x
      - .offset:         92
        .size:           2
        .value_kind:     hidden_remainder_y
      - .offset:         94
        .size:           2
        .value_kind:     hidden_remainder_z
      - .offset:         112
        .size:           8
        .value_kind:     hidden_global_offset_x
      - .offset:         120
        .size:           8
        .value_kind:     hidden_global_offset_y
      - .offset:         128
        .size:           8
        .value_kind:     hidden_global_offset_z
      - .offset:         136
        .size:           2
        .value_kind:     hidden_grid_dims
    .group_segment_fixed_size: 0
    .kernarg_segment_align: 8
    .kernarg_segment_size: 328
    .language:       OpenCL C
    .language_version:
      - 2
      - 0
    .max_flat_workgroup_size: 1024
    .name:           _Z3attPKiS0_PfS1_S1_S1_S1_iii
    .private_segment_fixed_size: 0
    .sgpr_count:     40
    .sgpr_spill_count: 0
    .symbol:         _Z3attPKiS0_PfS1_S1_S1_S1_iii.kd
    .uniform_work_group_size: 1
    .uses_dynamic_stack: false
    .vgpr_count:     28
    .vgpr_spill_count: 0
    .wavefront_size: 64
amdhsa.target:   amdgcn-amd-amdhsa--gfx906
amdhsa.version:
  - 1
  - 2
...

	.end_amdgpu_metadata
